;; amdgpu-corpus repo=zjin-lcf/HeCBench kind=compiled arch=gfx1250 opt=O3
	.amdgcn_target "amdgcn-amd-amdhsa--gfx1250"
	.amdhsa_code_object_version 6
	.text
	.protected	_Z8svd3_SOAPKfPfi       ; -- Begin function _Z8svd3_SOAPKfPfi
	.globl	_Z8svd3_SOAPKfPfi
	.p2align	8
	.type	_Z8svd3_SOAPKfPfi,@function
_Z8svd3_SOAPKfPfi:                      ; @_Z8svd3_SOAPKfPfi
; %bb.0:
	s_clause 0x1
	s_load_b32 s2, s[0:1], 0x24
	s_load_b32 s8, s[0:1], 0x10
	s_bfe_u32 s3, ttmp6, 0x4000c
	s_and_b32 s4, ttmp6, 15
	s_add_co_i32 s3, s3, 1
	s_getreg_b32 s5, hwreg(HW_REG_IB_STS2, 6, 4)
	s_mul_i32 s3, ttmp9, s3
	s_delay_alu instid0(SALU_CYCLE_1) | instskip(SKIP_4) | instid1(SALU_CYCLE_1)
	s_add_co_i32 s4, s4, s3
	s_wait_kmcnt 0x0
	s_and_b32 s2, s2, 0xffff
	s_cmp_eq_u32 s5, 0
	s_cselect_b32 s3, ttmp9, s4
	v_mad_u32 v2, s3, s2, v0
	s_mov_b32 s2, exec_lo
	s_delay_alu instid0(VALU_DEP_1)
	v_cmpx_gt_i32_e64 s8, v2
	s_cbranch_execz .LBB0_4
; %bb.1:
	v_add_nc_u32_e32 v58, s8, v2
	s_load_b128 s[4:7], s[0:1], 0x0
	v_dual_mov_b32 v44, 0 :: v_dual_ashrrev_i32 v3, 31, v2
	s_ashr_i32 s9, s8, 31
	s_delay_alu instid0(VALU_DEP_2) | instskip(SKIP_3) | instid1(VALU_DEP_2)
	v_add_nc_u32_e32 v4, s8, v58
	s_wait_xcnt 0x0
	s_mov_b32 s1, 4
	v_dual_mov_b32 v45, 1.0 :: v_dual_mov_b32 v33, 0.5
	v_dual_mov_b32 v47, v44 :: v_dual_add_nc_u32 v10, s8, v4
	s_delay_alu instid0(VALU_DEP_1) | instskip(NEXT) | instid1(VALU_DEP_1)
	v_add_nc_u32_e32 v6, s8, v10
	v_add_nc_u32_e32 v12, s8, v6
	s_wait_kmcnt 0x0
	v_lshl_add_u64 v[0:1], v[2:3], 2, s[4:5]
	s_delay_alu instid0(VALU_DEP_2) | instskip(SKIP_1) | instid1(VALU_DEP_3)
	v_dual_ashrrev_i32 v11, 31, v10 :: v_dual_ashrrev_i32 v13, 31, v12
	v_add_nc_u32_e32 v8, s8, v12
	v_lshl_add_u64 v[0:1], s[8:9], 2, v[0:1]
	v_dual_mov_b32 v46, v44 :: v_dual_ashrrev_i32 v5, 31, v4
	s_delay_alu instid0(VALU_DEP_3)
	v_add_nc_u32_e32 v14, s8, v8
	s_clause 0x6
	global_load_b32 v18, v10, s[4:5] scale_offset
	global_load_b32 v17, v6, s[4:5] scale_offset
	;; [unrolled: 1-line block ×5, first 2 shown]
	global_load_b32 v23, v[0:1], off
	global_load_b32 v22, v4, s[4:5] scale_offset
	v_dual_ashrrev_i32 v7, 31, v6 :: v_dual_ashrrev_i32 v9, 31, v8
	s_wait_xcnt 0x1
	v_add_nc_u32_e32 v0, s8, v14
	s_clause 0x1
	global_load_b32 v21, v14, s[4:5] scale_offset
	global_load_b32 v28, v0, s[4:5] scale_offset
	v_dual_ashrrev_i32 v15, 31, v14 :: v_dual_ashrrev_i32 v1, 31, v0
	s_wait_loadcnt 0x4
	v_mov_b32_e32 v27, v26
	v_pk_mul_f32 v[30:31], v[18:19], v[16:17] op_sel_hi:[0,1]
	v_mov_b32_e32 v19, v17
	v_pk_mul_f32 v[34:35], v[16:17], v[16:17] op_sel_hi:[1,0]
	v_mov_b32_e32 v38, v26
	s_wait_loadcnt 0x2
	v_pk_fma_f32 v[36:37], v[24:25], v[22:23], v[30:31] op_sel_hi:[0,1,1]
	v_mov_b32_e32 v25, v23
	v_pk_mul_f32 v[30:31], v[18:19], v[18:19]
	s_wait_loadcnt 0x0
	v_dual_mov_b32 v39, v21 :: v_dual_mov_b32 v20, v28
	v_pk_fma_f32 v[40:41], v[22:23], v[22:23], v[34:35] op_sel_hi:[1,0,1]
	v_mov_b32_e32 v29, v28
	v_pk_fma_f32 v[42:43], v[24:25], v[24:25], v[30:31]
	v_dual_mov_b32 v30, v16 :: v_dual_mov_b32 v31, v16
	v_pk_fma_f32 v[34:35], v[26:27], v[20:21], v[36:37] op_sel_hi:[0,1,1]
	s_delay_alu instid0(VALU_DEP_3)
	v_pk_fma_f32 v[36:37], v[38:39], v[38:39], v[42:43]
	v_pk_fma_f32 v[38:39], v[20:21], v[28:29], v[40:41] op_sel_hi:[1,0,1]
.LBB0_2:                                ; =>This Inner Loop Header: Depth=1
	s_delay_alu instid0(VALU_DEP_2) | instskip(NEXT) | instid1(VALU_DEP_4)
	v_dual_mul_f32 v19, 0.5, v35 :: v_dual_mov_b32 v20, v37
	v_pk_add_f32 v[42:43], v[34:35], v[34:35]
	s_add_co_i32 s1, s1, -1
	s_delay_alu instid0(VALU_DEP_3) | instskip(SKIP_3) | instid1(VALU_DEP_1)
	v_mov_b32_e32 v57, v39
	s_cmp_lg_u32 s1, 0
	v_pk_add_f32 v[40:41], v[36:37], v[20:21] neg_lo:[0,1] neg_hi:[0,1]
	v_dual_mul_f32 v20, v19, v19 :: v_dual_mov_b32 v56, v37
	v_cmp_nle_f32_e32 vcc_lo, 0x1e3ce508, v20
	v_cndmask_b32_e64 v49, v19, 0, vcc_lo
	s_delay_alu instid0(VALU_DEP_4) | instskip(NEXT) | instid1(VALU_DEP_1)
	v_cndmask_b32_e64 v48, v40, 1.0, vcc_lo
	v_pk_mul_f32 v[50:51], v[48:49], v[48:49]
	s_delay_alu instid0(VALU_DEP_1) | instskip(NEXT) | instid1(VALU_DEP_1)
	v_add_f32_e32 v19, v51, v50
	v_cmp_gt_f32_e32 vcc_lo, 0xf800000, v19
	v_mul_f32_e32 v20, 0x4f800000, v19
	s_delay_alu instid0(VALU_DEP_1) | instskip(NEXT) | instid1(VALU_DEP_1)
	v_cndmask_b32_e32 v19, v19, v20, vcc_lo
	v_sqrt_f32_e32 v20, v19
	v_nop
	s_delay_alu instid0(TRANS32_DEP_1) | instskip(NEXT) | instid1(VALU_DEP_1)
	v_add_nc_u32_e32 v32, -1, v20
	v_fma_f32 v41, -v32, v20, v19
	s_delay_alu instid0(VALU_DEP_1) | instskip(SKIP_1) | instid1(VALU_DEP_2)
	v_cmp_ge_f32_e64 s0, 0, v41
	v_add_nc_u32_e32 v41, 1, v20
	v_cndmask_b32_e64 v32, v20, v32, s0
	s_delay_alu instid0(VALU_DEP_2) | instskip(NEXT) | instid1(VALU_DEP_1)
	v_fma_f32 v20, -v41, v20, v19
	v_cmp_lt_f32_e64 s0, 0, v20
	s_delay_alu instid0(VALU_DEP_1) | instskip(NEXT) | instid1(VALU_DEP_1)
	v_cndmask_b32_e64 v20, v32, v41, s0
	v_mul_f32_e32 v32, 0x37800000, v20
	s_delay_alu instid0(VALU_DEP_1) | instskip(SKIP_1) | instid1(VALU_DEP_2)
	v_cndmask_b32_e32 v20, v20, v32, vcc_lo
	v_cmp_class_f32_e64 vcc_lo, v19, 0x260
	v_cndmask_b32_e32 v19, v20, v19, vcc_lo
	s_delay_alu instid0(VALU_DEP_1) | instskip(NEXT) | instid1(VALU_DEP_1)
	v_div_scale_f32 v20, null, v19, v19, 1.0
	v_rcp_f32_e32 v32, v20
	v_nop
	s_delay_alu instid0(TRANS32_DEP_1) | instskip(NEXT) | instid1(VALU_DEP_1)
	v_fma_f32 v41, -v20, v32, 1.0
	v_fmac_f32_e32 v32, v41, v32
	v_div_scale_f32 v41, vcc_lo, 1.0, v19, 1.0
	s_delay_alu instid0(VALU_DEP_1) | instskip(NEXT) | instid1(VALU_DEP_1)
	v_mul_f32_e32 v42, v41, v32
	v_fma_f32 v52, -v20, v42, v41
	s_delay_alu instid0(VALU_DEP_1) | instskip(NEXT) | instid1(VALU_DEP_1)
	v_fmac_f32_e32 v42, v52, v32
	v_fma_f32 v20, -v20, v42, v41
	s_delay_alu instid0(VALU_DEP_1) | instskip(SKIP_1) | instid1(VALU_DEP_2)
	v_div_fmas_f32 v20, v20, v32, v42
	v_mov_b32_e32 v42, v45
	v_div_fixup_f32 v20, v20, v19, 1.0
	v_mul_f32_e32 v19, 0x40ba827a, v51
	s_delay_alu instid0(VALU_DEP_2) | instskip(NEXT) | instid1(VALU_DEP_2)
	v_pk_mul_f32 v[48:49], v[48:49], v[20:21] op_sel_hi:[1,0]
	v_cmp_nle_f32_e32 vcc_lo, v50, v19
	s_delay_alu instid0(VALU_DEP_2) | instskip(NEXT) | instid1(VALU_DEP_3)
	v_cndmask_b32_e32 v51, 0x3ec3ef15, v49, vcc_lo
	v_cndmask_b32_e32 v50, 0x3f6c835f, v48, vcc_lo
	s_delay_alu instid0(VALU_DEP_1) | instskip(NEXT) | instid1(VALU_DEP_1)
	v_pk_mul_f32 v[48:49], v[50:51], v[50:51]
	v_dual_mov_b32 v20, v49 :: v_dual_mov_b32 v61, v48
	s_delay_alu instid0(VALU_DEP_1) | instskip(NEXT) | instid1(VALU_DEP_1)
	v_pk_fma_f32 v[52:53], v[50:51], v[50:51], v[20:21] neg_lo:[0,0,1] neg_hi:[0,0,1]
	v_dual_mov_b32 v20, v51 :: v_dual_mov_b32 v19, v52
	s_delay_alu instid0(VALU_DEP_1) | instskip(NEXT) | instid1(VALU_DEP_1)
	v_pk_mul_f32 v[54:55], v[50:51], v[20:21]
	v_dual_mov_b32 v55, v49 :: v_dual_mov_b32 v60, v54
	s_delay_alu instid0(VALU_DEP_1) | instskip(NEXT) | instid1(VALU_DEP_1)
	v_pk_add_f32 v[60:61], v[54:55], v[60:61]
	v_dual_mov_b32 v54, v52 :: v_dual_mov_b32 v20, v61
	s_delay_alu instid0(VALU_DEP_2) | instskip(NEXT) | instid1(VALU_DEP_2)
	v_dual_mov_b32 v55, v60 :: v_dual_mov_b32 v49, v61
	v_pk_mul_f32 v[38:39], v[38:39], v[20:21]
	s_delay_alu instid0(VALU_DEP_2) | instskip(NEXT) | instid1(VALU_DEP_2)
	v_pk_mul_f32 v[62:63], v[54:55], v[54:55]
	v_pk_mul_f32 v[38:39], v[20:21], v[38:39]
	s_delay_alu instid0(VALU_DEP_2) | instskip(NEXT) | instid1(VALU_DEP_1)
	v_dual_mov_b32 v48, v62 :: v_dual_mov_b32 v32, v63
	v_pk_mul_f32 v[56:57], v[56:57], v[48:49]
	v_dual_mov_b32 v49, v34 :: v_dual_mul_f32 v34, v37, v63
	s_delay_alu instid0(VALU_DEP_2) | instskip(NEXT) | instid1(VALU_DEP_2)
	v_mov_b32_e32 v48, v57
	v_pk_fma_f32 v[66:67], v[36:37], v[62:63], v[34:35] op_sel_hi:[1,1,0]
	s_delay_alu instid0(VALU_DEP_4) | instskip(SKIP_1) | instid1(VALU_DEP_4)
	v_pk_fma_f32 v[36:37], v[36:37], v[32:33], v[56:57]
	v_pk_mul_f32 v[56:57], v[56:57], v[18:19]
	v_pk_mul_f32 v[64:65], v[60:61], v[48:49]
	v_mov_b32_e32 v19, v62
	v_pk_mul_f32 v[62:63], v[52:53], v[60:61]
	s_delay_alu instid0(VALU_DEP_4) | instskip(NEXT) | instid1(VALU_DEP_4)
	v_dual_mov_b32 v63, v60 :: v_dual_mov_b32 v37, v57
	v_dual_mov_b32 v20, v65 :: v_dual_mov_b32 v60, v51
	v_dual_mov_b32 v61, v50 :: v_dual_mov_b32 v32, v38
	s_delay_alu instid0(VALU_DEP_2) | instskip(SKIP_3) | instid1(VALU_DEP_3)
	v_pk_fma_f32 v[48:49], v[52:53], v[20:21], v[64:65]
	v_dual_mov_b32 v64, v43 :: v_dual_mov_b32 v20, v51
	v_mov_b32_e32 v43, v46
	v_pk_fma_f32 v[54:55], v[54:55], v[54:55], v[18:19] neg_lo:[1,0,0] neg_hi:[1,0,0]
	v_pk_fma_f32 v[36:37], v[64:65], v[62:63], v[36:37] neg_lo:[1,0,0] neg_hi:[1,0,0]
	s_delay_alu instid0(VALU_DEP_4) | instskip(NEXT) | instid1(VALU_DEP_4)
	v_pk_mul_f32 v[52:53], v[46:47], v[20:21] op_sel_hi:[1,0]
	v_pk_mul_f32 v[42:43], v[42:43], v[60:61]
	v_dual_mov_b32 v46, v47 :: v_dual_mov_b32 v47, v44
	v_pk_fma_f32 v[56:57], v[64:65], v[62:63], v[66:67]
	s_delay_alu instid0(VALU_DEP_2) | instskip(SKIP_2) | instid1(VALU_DEP_1)
	v_pk_fma_f32 v[42:43], v[46:47], v[50:51], v[42:43]
	v_pk_fma_f32 v[46:47], v[44:45], v[50:51], v[52:53] op_sel_hi:[1,0,1] neg_lo:[0,0,1] neg_hi:[0,0,1]
	v_pk_mul_f32 v[44:45], v[36:37], v[32:33]
	v_mul_f32_e32 v19, v45, v45
	v_pk_add_f32 v[50:51], v[36:37], v[32:33] neg_lo:[0,1] neg_hi:[0,1]
	s_delay_alu instid0(VALU_DEP_2) | instskip(SKIP_1) | instid1(VALU_DEP_3)
	v_cmp_nle_f32_e32 vcc_lo, 0x1e3ce508, v19
	v_cndmask_b32_e64 v45, v45, 0, vcc_lo
	v_cndmask_b32_e64 v44, v50, 1.0, vcc_lo
	s_delay_alu instid0(VALU_DEP_1) | instskip(NEXT) | instid1(VALU_DEP_1)
	v_pk_mul_f32 v[52:53], v[44:45], v[44:45]
	v_add_f32_e32 v19, v53, v52
	s_delay_alu instid0(VALU_DEP_1) | instskip(SKIP_1) | instid1(VALU_DEP_1)
	v_cmp_gt_f32_e32 vcc_lo, 0xf800000, v19
	v_mul_f32_e32 v20, 0x4f800000, v19
	v_cndmask_b32_e32 v19, v19, v20, vcc_lo
	s_delay_alu instid0(VALU_DEP_1) | instskip(SKIP_1) | instid1(TRANS32_DEP_1)
	v_sqrt_f32_e32 v20, v19
	v_nop
	v_add_nc_u32_e32 v32, -1, v20
	s_delay_alu instid0(VALU_DEP_1) | instskip(NEXT) | instid1(VALU_DEP_1)
	v_fma_f32 v34, -v32, v20, v19
	v_cmp_ge_f32_e64 s0, 0, v34
	v_add_nc_u32_e32 v34, 1, v20
	s_delay_alu instid0(VALU_DEP_2) | instskip(NEXT) | instid1(VALU_DEP_2)
	v_cndmask_b32_e64 v32, v20, v32, s0
	v_fma_f32 v20, -v34, v20, v19
	s_delay_alu instid0(VALU_DEP_1) | instskip(NEXT) | instid1(VALU_DEP_1)
	v_cmp_lt_f32_e64 s0, 0, v20
	v_cndmask_b32_e64 v20, v32, v34, s0
	s_delay_alu instid0(VALU_DEP_1) | instskip(NEXT) | instid1(VALU_DEP_1)
	v_mul_f32_e32 v32, 0x37800000, v20
	v_cndmask_b32_e32 v20, v20, v32, vcc_lo
	v_cmp_class_f32_e64 vcc_lo, v19, 0x260
	s_delay_alu instid0(VALU_DEP_2) | instskip(NEXT) | instid1(VALU_DEP_1)
	v_cndmask_b32_e32 v19, v20, v19, vcc_lo
	v_div_scale_f32 v20, null, v19, v19, 1.0
	s_delay_alu instid0(VALU_DEP_1) | instskip(SKIP_1) | instid1(TRANS32_DEP_1)
	v_rcp_f32_e32 v32, v20
	v_nop
	v_fma_f32 v34, -v20, v32, 1.0
	s_delay_alu instid0(VALU_DEP_1) | instskip(SKIP_1) | instid1(VALU_DEP_1)
	v_fmac_f32_e32 v32, v34, v32
	v_div_scale_f32 v34, vcc_lo, 1.0, v19, 1.0
	v_mul_f32_e32 v41, v34, v32
	s_delay_alu instid0(VALU_DEP_1) | instskip(NEXT) | instid1(VALU_DEP_1)
	v_fma_f32 v49, -v20, v41, v34
	v_fmac_f32_e32 v41, v49, v32
	s_delay_alu instid0(VALU_DEP_1) | instskip(NEXT) | instid1(VALU_DEP_1)
	v_fma_f32 v20, -v20, v41, v34
	v_div_fmas_f32 v20, v20, v32, v41
	v_mov_b32_e32 v41, v62
	s_delay_alu instid0(VALU_DEP_2) | instskip(SKIP_1) | instid1(VALU_DEP_2)
	v_div_fixup_f32 v20, v20, v19, 1.0
	v_mul_f32_e32 v19, 0x40ba827a, v53
	v_pk_mul_f32 v[44:45], v[44:45], v[20:21] op_sel_hi:[1,0]
	s_delay_alu instid0(VALU_DEP_2) | instskip(NEXT) | instid1(VALU_DEP_2)
	v_cmp_nle_f32_e32 vcc_lo, v52, v19
	v_cndmask_b32_e32 v52, 0x3f6c835f, v44, vcc_lo
	s_delay_alu instid0(VALU_DEP_3) | instskip(NEXT) | instid1(VALU_DEP_2)
	v_cndmask_b32_e32 v53, 0x3ec3ef15, v45, vcc_lo
	v_dual_mov_b32 v45, v40 :: v_dual_mov_b32 v54, v52
	s_delay_alu instid0(VALU_DEP_2) | instskip(SKIP_2) | instid1(VALU_DEP_3)
	v_dual_mov_b32 v44, v53 :: v_dual_mov_b32 v40, v53
	v_dual_mov_b32 v32, v53 :: v_dual_mov_b32 v34, v52
	v_mov_b32_e32 v20, v53
	v_pk_mul_f32 v[40:41], v[44:45], v[40:41]
	v_pk_mul_f32 v[44:45], v[52:53], v[52:53]
	s_delay_alu instid0(VALU_DEP_2) | instskip(SKIP_1) | instid1(VALU_DEP_3)
	v_pk_fma_f32 v[54:55], v[34:35], v[54:55], v[40:41] neg_lo:[0,0,1] neg_hi:[0,0,1]
	v_pk_mul_f32 v[34:35], v[52:53], v[32:33]
	v_dual_mov_b32 v35, v40 :: v_dual_mov_b32 v41, v44
	s_delay_alu instid0(VALU_DEP_2) | instskip(NEXT) | instid1(VALU_DEP_1)
	v_dual_mov_b32 v19, v54 :: v_dual_mov_b32 v40, v34
	v_pk_add_f32 v[40:41], v[34:35], v[40:41]
	s_delay_alu instid0(VALU_DEP_1) | instskip(NEXT) | instid1(VALU_DEP_2)
	v_dual_mov_b32 v35, v48 :: v_dual_mov_b32 v32, v41
	v_pk_mul_f32 v[48:49], v[54:55], v[40:41]
	s_delay_alu instid0(VALU_DEP_2) | instskip(SKIP_2) | instid1(VALU_DEP_3)
	v_pk_mul_f32 v[44:45], v[56:57], v[32:33]
	v_dual_mov_b32 v56, v37 :: v_dual_mov_b32 v57, v34
	v_mov_b32_e32 v34, v36
	v_pk_mul_f32 v[44:45], v[32:33], v[44:45]
	v_mul_f32_e32 v32, v54, v49
	s_delay_alu instid0(VALU_DEP_4) | instskip(NEXT) | instid1(VALU_DEP_1)
	v_pk_add_f32 v[56:57], v[56:57], v[56:57]
	v_dual_mov_b32 v45, v33 :: v_dual_mov_b32 v55, v57
	s_delay_alu instid0(VALU_DEP_1) | instskip(NEXT) | instid1(VALU_DEP_1)
	v_pk_mul_f32 v[60:61], v[54:55], v[54:55]
	v_mov_b32_e32 v40, v61
	s_delay_alu instid0(VALU_DEP_1) | instskip(SKIP_1) | instid1(VALU_DEP_2)
	v_pk_mul_f32 v[62:63], v[34:35], v[40:41]
	v_dual_mov_b32 v34, v57 :: v_dual_mov_b32 v35, v54
	v_dual_mov_b32 v41, v49 :: v_dual_mov_b32 v40, v63
	s_delay_alu instid0(VALU_DEP_3) | instskip(NEXT) | instid1(VALU_DEP_2)
	v_pk_mul_f32 v[64:65], v[18:19], v[62:63]
	v_pk_fma_f32 v[34:35], v[34:35], v[40:41], v[32:33] op_sel_hi:[1,1,0]
	v_dual_mov_b32 v40, v36 :: v_dual_mov_b32 v41, v38
	v_mul_f32_e32 v32, v38, v61
	v_pk_fma_f32 v[38:39], v[38:39], v[60:61], v[62:63]
	v_dual_mov_b32 v39, v65 :: v_dual_mov_b32 v62, v37
	v_mov_b32_e32 v63, v50
	s_delay_alu instid0(VALU_DEP_4) | instskip(SKIP_3) | instid1(VALU_DEP_3)
	v_pk_fma_f32 v[40:41], v[40:41], v[60:61], v[32:33] op_sel_hi:[1,1,0]
	v_mov_b32_e32 v32, v61
	v_pk_mul_f32 v[60:61], v[56:57], v[48:49]
	v_mov_b32_e32 v36, v43
	v_pk_fma_f32 v[54:55], v[54:55], v[54:55], v[32:33] neg_lo:[0,0,1] neg_hi:[0,0,1]
	v_mov_b32_e32 v55, v48
	v_pk_fma_f32 v[48:49], v[56:57], v[48:49], v[38:39] neg_lo:[1,0,0] neg_hi:[1,0,0]
	v_dual_mov_b32 v38, v53 :: v_dual_mov_b32 v39, v52
	s_delay_alu instid0(VALU_DEP_4) | instskip(NEXT) | instid1(VALU_DEP_3)
	v_dual_mul_f32 v32, v37, v54 :: v_dual_mov_b32 v37, v46
	v_mov_b32_e32 v68, v49
	s_delay_alu instid0(VALU_DEP_2) | instskip(NEXT) | instid1(VALU_DEP_3)
	v_pk_fma_f32 v[50:51], v[62:63], v[54:55], v[32:33] op_sel_hi:[1,1,0] neg_lo:[1,0,0] neg_hi:[1,0,0]
	v_pk_mul_f32 v[36:37], v[36:37], v[20:21] op_sel_hi:[1,0]
	v_mov_b32_e32 v54, v47
	v_pk_mul_f32 v[38:39], v[42:43], v[38:39]
	v_mov_b32_e32 v55, v42
	s_delay_alu instid0(VALU_DEP_2) | instskip(NEXT) | instid1(VALU_DEP_2)
	v_pk_fma_f32 v[42:43], v[46:47], v[52:53], v[38:39]
	v_pk_fma_f32 v[46:47], v[54:55], v[52:53], v[36:37] op_sel_hi:[1,0,1] neg_lo:[0,0,1] neg_hi:[0,0,1]
	v_pk_mul_f32 v[36:37], v[48:49], v[44:45]
	v_pk_add_f32 v[38:39], v[48:49], v[44:45] neg_lo:[0,1] neg_hi:[0,1]
	s_delay_alu instid0(VALU_DEP_2) | instskip(NEXT) | instid1(VALU_DEP_1)
	v_mul_f32_e32 v19, v37, v37
	v_cmp_nle_f32_e32 vcc_lo, 0x1e3ce508, v19
	v_cndmask_b32_e64 v37, v37, 0, vcc_lo
	s_delay_alu instid0(VALU_DEP_4) | instskip(NEXT) | instid1(VALU_DEP_1)
	v_cndmask_b32_e64 v36, v38, 1.0, vcc_lo
	v_pk_mul_f32 v[52:53], v[36:37], v[36:37]
	s_delay_alu instid0(VALU_DEP_1) | instskip(NEXT) | instid1(VALU_DEP_1)
	v_add_f32_e32 v19, v53, v52
	v_cmp_gt_f32_e32 vcc_lo, 0xf800000, v19
	v_mul_f32_e32 v20, 0x4f800000, v19
	s_delay_alu instid0(VALU_DEP_1) | instskip(NEXT) | instid1(VALU_DEP_1)
	v_cndmask_b32_e32 v19, v19, v20, vcc_lo
	v_sqrt_f32_e32 v20, v19
	v_nop
	s_delay_alu instid0(TRANS32_DEP_1) | instskip(NEXT) | instid1(VALU_DEP_1)
	v_add_nc_u32_e32 v32, -1, v20
	v_fma_f32 v39, -v32, v20, v19
	s_delay_alu instid0(VALU_DEP_1) | instskip(SKIP_1) | instid1(VALU_DEP_2)
	v_cmp_ge_f32_e64 s0, 0, v39
	v_add_nc_u32_e32 v39, 1, v20
	v_cndmask_b32_e64 v32, v20, v32, s0
	s_delay_alu instid0(VALU_DEP_2) | instskip(NEXT) | instid1(VALU_DEP_1)
	v_fma_f32 v20, -v39, v20, v19
	v_cmp_lt_f32_e64 s0, 0, v20
	s_delay_alu instid0(VALU_DEP_1) | instskip(NEXT) | instid1(VALU_DEP_1)
	v_cndmask_b32_e64 v20, v32, v39, s0
	v_mul_f32_e32 v32, 0x37800000, v20
	s_delay_alu instid0(VALU_DEP_1) | instskip(SKIP_1) | instid1(VALU_DEP_2)
	v_cndmask_b32_e32 v20, v20, v32, vcc_lo
	v_cmp_class_f32_e64 vcc_lo, v19, 0x260
	v_cndmask_b32_e32 v19, v20, v19, vcc_lo
	s_delay_alu instid0(VALU_DEP_1) | instskip(NEXT) | instid1(VALU_DEP_1)
	v_div_scale_f32 v20, null, v19, v19, 1.0
	v_rcp_f32_e32 v32, v20
	v_nop
	s_delay_alu instid0(TRANS32_DEP_1) | instskip(NEXT) | instid1(VALU_DEP_1)
	v_fma_f32 v39, -v20, v32, 1.0
	v_fmac_f32_e32 v32, v39, v32
	v_div_scale_f32 v39, vcc_lo, 1.0, v19, 1.0
	s_delay_alu instid0(VALU_DEP_1) | instskip(NEXT) | instid1(VALU_DEP_1)
	v_mul_f32_e32 v41, v39, v32
	v_fma_f32 v45, -v20, v41, v39
	s_delay_alu instid0(VALU_DEP_1) | instskip(NEXT) | instid1(VALU_DEP_1)
	v_dual_fmac_f32 v41, v45, v32 :: v_dual_mov_b32 v45, v51
	v_fma_f32 v20, -v20, v41, v39
	s_delay_alu instid0(VALU_DEP_1) | instskip(NEXT) | instid1(VALU_DEP_1)
	v_div_fmas_f32 v20, v20, v32, v41
	v_div_fixup_f32 v20, v20, v19, 1.0
	v_mul_f32_e32 v19, 0x40ba827a, v53
	s_delay_alu instid0(VALU_DEP_2) | instskip(NEXT) | instid1(VALU_DEP_2)
	v_pk_mul_f32 v[36:37], v[36:37], v[20:21] op_sel_hi:[1,0]
	v_cmp_nle_f32_e32 vcc_lo, v52, v19
	s_delay_alu instid0(VALU_DEP_2) | instskip(NEXT) | instid1(VALU_DEP_3)
	v_cndmask_b32_e32 v53, 0x3ec3ef15, v37, vcc_lo
	v_cndmask_b32_e32 v52, 0x3f6c835f, v36, vcc_lo
	s_delay_alu instid0(VALU_DEP_1) | instskip(NEXT) | instid1(VALU_DEP_1)
	v_pk_mul_f32 v[54:55], v[52:53], v[52:53]
	v_dual_mov_b32 v61, v55 :: v_dual_mov_b32 v41, v54
	v_dual_mov_b32 v50, v54 :: v_dual_mov_b32 v20, v53
	v_mov_b32_e32 v54, v55
	s_delay_alu instid0(VALU_DEP_3) | instskip(SKIP_1) | instid1(VALU_DEP_4)
	v_pk_add_f32 v[40:41], v[60:61], v[40:41]
	v_pk_add_f32 v[60:61], v[48:49], v[48:49]
	v_pk_mul_f32 v[56:57], v[52:53], v[20:21]
	s_delay_alu instid0(VALU_DEP_2) | instskip(NEXT) | instid1(VALU_DEP_2)
	v_dual_mov_b32 v20, v41 :: v_dual_mov_b32 v60, v61
	v_dual_mov_b32 v51, v56 :: v_dual_mov_b32 v55, v56
	s_delay_alu instid0(VALU_DEP_2) | instskip(SKIP_1) | instid1(VALU_DEP_3)
	v_pk_mul_f32 v[34:35], v[34:35], v[20:21]
	v_mul_f32_e32 v20, v40, v41
	v_pk_add_f32 v[56:57], v[50:51], v[54:55] neg_lo:[0,1] neg_hi:[0,1]
	v_pk_add_f32 v[50:51], v[50:51], v[54:55]
	s_delay_alu instid0(VALU_DEP_4) | instskip(NEXT) | instid1(VALU_DEP_4)
	v_mov_b32_e32 v61, v34
	v_pk_mul_f32 v[36:37], v[40:41], v[20:21] op_sel_hi:[1,0]
	s_delay_alu instid0(VALU_DEP_4) | instskip(NEXT) | instid1(VALU_DEP_4)
	v_dual_mov_b32 v69, v34 :: v_dual_mov_b32 v50, v56
	v_dual_mov_b32 v19, v56 :: v_dual_mov_b32 v32, v51
	v_mov_b32_e32 v67, v51
	s_delay_alu instid0(VALU_DEP_3) | instskip(NEXT) | instid1(VALU_DEP_1)
	v_pk_mul_f32 v[54:55], v[50:51], v[50:51]
	v_dual_mov_b32 v20, v55 :: v_dual_mov_b32 v40, v55
	s_delay_alu instid0(VALU_DEP_1) | instskip(NEXT) | instid1(VALU_DEP_2)
	v_pk_fma_f32 v[50:51], v[50:51], v[50:51], v[20:21] neg_lo:[0,0,1] neg_hi:[0,0,1]
	v_pk_mul_f32 v[40:41], v[44:45], v[40:41]
	v_dual_mov_b32 v51, v56 :: v_dual_mov_b32 v20, v53
	s_delay_alu instid0(VALU_DEP_2) | instskip(SKIP_2) | instid1(VALU_DEP_3)
	v_pk_mul_f32 v[64:65], v[18:19], v[40:41]
	v_pk_fma_f32 v[62:63], v[48:49], v[54:55], v[40:41]
	v_dual_mov_b32 v39, v41 :: v_dual_mov_b32 v40, v53
	v_dual_mov_b32 v41, v52 :: v_dual_mov_b32 v63, v65
	v_pk_mul_f32 v[64:65], v[56:57], v[32:33]
	v_mul_f32_e32 v19, v44, v54
	s_delay_alu instid0(VALU_DEP_2) | instskip(NEXT) | instid1(VALU_DEP_3)
	v_mov_b32_e32 v66, v64
	v_pk_mul_f32 v[64:65], v[64:65], v[60:61]
	s_delay_alu instid0(VALU_DEP_2) | instskip(SKIP_1) | instid1(VALU_DEP_2)
	v_pk_mul_f32 v[34:35], v[38:39], v[66:67]
	v_pk_fma_f32 v[38:39], v[66:67], v[60:61], v[62:63]
	v_pk_fma_f32 v[34:35], v[68:69], v[50:51], v[34:35] neg_lo:[0,0,1] neg_hi:[0,0,1]
	v_dual_mov_b32 v50, v42 :: v_dual_mov_b32 v51, v47
	v_pk_mul_f32 v[40:41], v[46:47], v[40:41]
	v_mov_b32_e32 v47, v43
	s_delay_alu instid0(VALU_DEP_3) | instskip(NEXT) | instid1(VALU_DEP_3)
	v_pk_mul_f32 v[50:51], v[50:51], v[20:21] op_sel_hi:[1,0]
	v_pk_fma_f32 v[40:41], v[42:43], v[52:53], v[40:41]
	s_delay_alu instid0(VALU_DEP_2) | instskip(SKIP_1) | instid1(VALU_DEP_3)
	v_pk_fma_f32 v[42:43], v[46:47], v[52:53], v[50:51] op_sel_hi:[1,0,1] neg_lo:[0,0,1] neg_hi:[0,0,1]
	v_fmac_f32_e32 v19, v48, v55
	v_dual_mov_b32 v44, v40 :: v_dual_mov_b32 v47, v41
	s_delay_alu instid0(VALU_DEP_3) | instskip(NEXT) | instid1(VALU_DEP_3)
	v_dual_mov_b32 v46, v43 :: v_dual_mov_b32 v45, v42
	v_sub_f32_e32 v36, v19, v64
	s_cbranch_scc1 .LBB0_2
; %bb.3:
	v_pk_mul_f32 v[32:33], v[42:43], v[42:43]
	v_pk_mul_f32 v[34:35], v[40:41], v[40:41]
	v_dual_mov_b32 v55, v17 :: v_dual_mov_b32 v47, v18
	s_delay_alu instid0(VALU_DEP_3) | instskip(NEXT) | instid1(VALU_DEP_1)
	v_add_f32_e32 v19, v32, v33
	v_add_f32_e32 v19, v34, v19
	s_delay_alu instid0(VALU_DEP_1) | instskip(NEXT) | instid1(VALU_DEP_1)
	v_add_f32_e32 v19, v35, v19
	v_mul_f32_e32 v20, 0x4f800000, v19
	v_cmp_gt_f32_e32 vcc_lo, 0xf800000, v19
	s_delay_alu instid0(VALU_DEP_2) | instskip(NEXT) | instid1(VALU_DEP_1)
	v_cndmask_b32_e32 v20, v19, v20, vcc_lo
	v_sqrt_f32_e32 v32, v20
	v_nop
	s_delay_alu instid0(TRANS32_DEP_1) | instskip(NEXT) | instid1(VALU_DEP_1)
	v_dual_add_nc_u32 v33, -1, v32 :: v_dual_add_nc_u32 v34, 1, v32
	v_dual_fma_f32 v35, -v33, v32, v20 :: v_dual_fma_f32 v36, -v34, v32, v20
	s_delay_alu instid0(VALU_DEP_1) | instskip(NEXT) | instid1(VALU_DEP_1)
	v_cmp_ge_f32_e64 s0, 0, v35
	v_cndmask_b32_e64 v32, v32, v33, s0
	s_delay_alu instid0(VALU_DEP_3) | instskip(NEXT) | instid1(VALU_DEP_1)
	v_cmp_lt_f32_e64 s0, 0, v36
	v_cndmask_b32_e64 v32, v32, v34, s0
	s_delay_alu instid0(VALU_DEP_1) | instskip(NEXT) | instid1(VALU_DEP_1)
	v_mul_f32_e32 v33, 0x37800000, v32
	v_cndmask_b32_e32 v32, v32, v33, vcc_lo
	v_cmp_class_f32_e64 vcc_lo, v20, 0x260
	s_delay_alu instid0(VALU_DEP_2) | instskip(NEXT) | instid1(VALU_DEP_1)
	v_cndmask_b32_e32 v20, v32, v20, vcc_lo
	v_div_scale_f32 v32, null, v20, v20, 1.0
	v_div_scale_f32 v35, vcc_lo, 1.0, v20, 1.0
	s_delay_alu instid0(VALU_DEP_2) | instskip(SKIP_1) | instid1(TRANS32_DEP_1)
	v_rcp_f32_e32 v33, v32
	v_nop
	v_fma_f32 v34, -v32, v33, 1.0
	s_delay_alu instid0(VALU_DEP_1) | instskip(NEXT) | instid1(VALU_DEP_1)
	v_fmac_f32_e32 v33, v34, v33
	v_mul_f32_e32 v34, v35, v33
	s_delay_alu instid0(VALU_DEP_1) | instskip(NEXT) | instid1(VALU_DEP_1)
	v_fma_f32 v36, -v32, v34, v35
	v_fmac_f32_e32 v34, v36, v33
	s_delay_alu instid0(VALU_DEP_1) | instskip(NEXT) | instid1(VALU_DEP_1)
	v_fma_f32 v32, -v32, v34, v35
	v_div_fmas_f32 v32, v32, v33, v34
	s_delay_alu instid0(VALU_DEP_1) | instskip(NEXT) | instid1(VALU_DEP_1)
	v_div_fixup_f32 v20, v32, v20, 1.0
	v_mul_f32_e32 v32, 0.5, v20
	s_delay_alu instid0(VALU_DEP_1) | instskip(NEXT) | instid1(VALU_DEP_1)
	v_mul_f32_e32 v32, v20, v32
	v_mul_f32_e32 v32, v20, v32
	v_fmac_f32_e32 v20, 0.5, v20
	s_delay_alu instid0(VALU_DEP_1) | instskip(NEXT) | instid1(VALU_DEP_1)
	v_dual_fma_f32 v20, -v19, v32, v20 :: v_dual_mov_b32 v19, v24
	v_pk_mul_f32 v[34:35], v[42:43], v[20:21] op_sel_hi:[1,0]
	v_pk_mul_f32 v[40:41], v[40:41], v[20:21] op_sel_hi:[1,0]
	s_delay_alu instid0(VALU_DEP_2) | instskip(NEXT) | instid1(VALU_DEP_2)
	v_dual_mov_b32 v57, v18 :: v_dual_mul_f32 v32, v35, v35
	v_pk_mul_f32 v[48:49], v[40:41], v[40:41]
	v_dual_mov_b32 v48, v35 :: v_dual_mov_b32 v42, v35
	v_pk_add_f32 v[44:45], v[40:41], v[40:41]
	s_delay_alu instid0(VALU_DEP_4) | instskip(SKIP_2) | instid1(VALU_DEP_4)
	v_pk_fma_f32 v[36:37], v[34:35], v[34:35], v[32:33] op_sel_hi:[1,1,0] neg_lo:[0,0,1] neg_hi:[0,0,1]
	v_pk_fma_f32 v[32:33], v[34:35], v[34:35], v[32:33] op_sel_hi:[1,1,0]
	v_dual_mov_b32 v46, v41 :: v_dual_mov_b32 v20, v49
	v_mov_b32_e32 v51, v45
	s_delay_alu instid0(VALU_DEP_4) | instskip(SKIP_2) | instid1(VALU_DEP_3)
	v_pk_fma_f32 v[38:39], v[40:41], v[40:41], v[36:37]
	v_pk_fma_f32 v[52:53], v[40:41], v[40:41], v[36:37] neg_lo:[1,0,0] neg_hi:[1,0,0]
	v_pk_fma_f32 v[36:37], v[40:41], v[40:41], v[32:33] neg_lo:[1,0,0] neg_hi:[1,0,0]
	v_mov_b32_e32 v43, v38
	s_delay_alu instid0(VALU_DEP_2) | instskip(SKIP_1) | instid1(VALU_DEP_3)
	v_pk_add_f32 v[36:37], v[36:37], v[20:21] neg_lo:[0,1] neg_hi:[0,1]
	v_mov_b32_e32 v56, v44
	v_pk_add_f32 v[38:39], v[42:43], v[48:49]
	v_mov_b32_e32 v41, v34
	v_pk_add_f32 v[32:33], v[42:43], v[48:49] neg_lo:[0,1] neg_hi:[0,1]
	s_delay_alu instid0(VALU_DEP_3) | instskip(NEXT) | instid1(VALU_DEP_2)
	v_dual_mov_b32 v54, v34 :: v_dual_mov_b32 v50, v38
	v_mov_b32_e32 v39, v33
	s_delay_alu instid0(VALU_DEP_2) | instskip(NEXT) | instid1(VALU_DEP_2)
	v_pk_mul_f32 v[42:43], v[40:41], v[50:51]
	v_pk_mul_f32 v[54:55], v[54:55], v[38:39]
	s_delay_alu instid0(VALU_DEP_2) | instskip(NEXT) | instid1(VALU_DEP_1)
	v_mov_b32_e32 v20, v43
	v_pk_fma_f32 v[38:39], v[40:41], v[50:51], v[20:21]
	s_delay_alu instid0(VALU_DEP_4) | instskip(SKIP_3) | instid1(VALU_DEP_3)
	v_dual_mov_b32 v50, v40 :: v_dual_mov_b32 v51, v42
	v_dual_mov_b32 v42, v40 :: v_dual_mov_b32 v41, v17
	;; [unrolled: 1-line block ×4, first 2 shown]
	v_pk_add_f32 v[42:43], v[50:51], v[42:43] neg_lo:[0,1] neg_hi:[0,1]
	v_dual_mov_b32 v42, v44 :: v_dual_mov_b32 v50, v45
	v_mov_b32_e32 v51, v38
	v_pk_mul_f32 v[56:57], v[34:35], v[56:57]
	s_delay_alu instid0(VALU_DEP_4) | instskip(NEXT) | instid1(VALU_DEP_4)
	v_mov_b32_e32 v37, v43
	v_pk_fma_f32 v[44:45], v[46:47], v[42:43], v[54:55]
	v_pk_fma_f32 v[34:35], v[46:47], v[42:43], v[54:55] neg_lo:[0,0,1] neg_hi:[0,0,1]
	v_pk_mul_f32 v[54:55], v[40:41], v[50:51]
	v_pk_fma_f32 v[46:47], v[40:41], v[50:51], v[56:57] neg_lo:[0,0,1] neg_hi:[0,0,1]
	v_pk_fma_f32 v[50:51], v[40:41], v[50:51], v[56:57]
	v_dual_mov_b32 v40, v22 :: v_dual_mov_b32 v41, v24
	v_dual_mov_b32 v57, v52 :: v_dual_mov_b32 v47, v38
	;; [unrolled: 1-line block ×3, first 2 shown]
	v_pk_mul_f32 v[60:61], v[20:21], v[38:39] op_sel_hi:[0,1]
	v_mov_b32_e32 v50, v51
	s_delay_alu instid0(VALU_DEP_4) | instskip(NEXT) | instid1(VALU_DEP_4)
	v_pk_mul_f32 v[48:49], v[22:23], v[46:47]
	v_pk_mul_f32 v[52:53], v[40:41], v[42:43]
	v_pk_add_f32 v[40:41], v[54:55], v[56:57]
	v_pk_fma_f32 v[56:57], v[26:27], v[36:37], v[60:61]
	v_dual_mov_b32 v51, v45 :: v_dual_mov_b32 v47, v44
	s_delay_alu instid0(VALU_DEP_4) | instskip(SKIP_2) | instid1(VALU_DEP_4)
	v_dual_mov_b32 v54, v49 :: v_dual_mov_b32 v55, v53
	v_dual_mov_b32 v49, v52 :: v_dual_mov_b32 v52, v17
	;; [unrolled: 1-line block ×3, first 2 shown]
	v_pk_fma_f32 v[30:31], v[30:31], v[46:47], v[50:51]
	v_dual_mov_b32 v60, v26 :: v_dual_mov_b32 v17, v22
	s_delay_alu instid0(VALU_DEP_3) | instskip(NEXT) | instid1(VALU_DEP_4)
	v_pk_mul_f32 v[52:53], v[52:53], v[34:35] op_sel_hi:[1,0]
	v_pk_fma_f32 v[24:25], v[24:25], v[36:37], v[54:55]
	s_delay_alu instid0(VALU_DEP_4) | instskip(SKIP_4) | instid1(VALU_DEP_2)
	v_pk_mul_f32 v[50:51], v[30:31], v[30:31]
	v_mov_b32_e32 v61, v28
	v_pk_fma_f32 v[22:23], v[28:29], v[46:47], v[56:57]
	v_pk_fma_f32 v[18:19], v[18:19], v[40:41], v[52:53] op_sel_hi:[1,0,1]
	v_pk_add_f32 v[48:49], v[48:49], v[24:25]
	v_pk_fma_f32 v[26:27], v[16:17], v[40:41], v[18:19] op_sel:[0,1,0]
	s_delay_alu instid0(VALU_DEP_2) | instskip(SKIP_2) | instid1(VALU_DEP_4)
	v_pk_fma_f32 v[16:17], v[48:49], v[48:49], v[50:51]
	v_pk_mul_f32 v[18:19], v[60:61], v[40:41]
	v_xor_b32_e32 v28, v22, v23
	v_pk_mul_f32 v[24:25], v[26:27], v[26:27]
	s_delay_alu instid0(VALU_DEP_4) | instskip(NEXT) | instid1(VALU_DEP_4)
	v_pk_fma_f32 v[16:17], v[22:23], v[22:23], v[16:17]
	v_dual_mov_b32 v20, v19 :: v_dual_fma_f32 v18, v21, v34, v18
	s_delay_alu instid0(VALU_DEP_3) | instskip(NEXT) | instid1(VALU_DEP_3)
	v_dual_mov_b32 v19, v25 :: v_dual_mov_b32 v21, v24
	v_cmp_lt_f32_e64 s1, v16, v17
	v_xor_b32_e32 v29, v48, v49
	s_delay_alu instid0(VALU_DEP_3) | instskip(NEXT) | instid1(VALU_DEP_3)
	v_pk_add_f32 v[24:25], v[18:19], v[20:21]
	v_dual_cndmask_b32 v32, 0, v28, s1 :: v_dual_bitop2_b32 v35, v30, v31 bitop3:0x14
	s_delay_alu instid0(VALU_DEP_3) | instskip(SKIP_1) | instid1(VALU_DEP_3)
	v_cndmask_b32_e64 v29, 0, v29, s1
	v_xor_b32_e32 v37, v16, v17
	v_dual_fma_f32 v25, v24, v24, v25 :: v_dual_cndmask_b32 v42, 0, v35, s1
	s_delay_alu instid0(VALU_DEP_3) | instskip(NEXT) | instid1(VALU_DEP_3)
	v_xor_b32_e32 v49, v29, v49
	v_cndmask_b32_e64 v39, 0, v37, s1
	s_delay_alu instid0(VALU_DEP_1) | instskip(NEXT) | instid1(VALU_DEP_1)
	v_xor_b32_e32 v28, v39, v16
	v_cmp_gt_f32_e64 s0, v25, v28
	v_xor_b32_e32 v20, v42, v30
	s_delay_alu instid0(VALU_DEP_1) | instskip(NEXT) | instid1(VALU_DEP_1)
	v_xor_b32_e32 v19, v20, v26
	v_dual_cndmask_b32 v37, 0, v19, s0 :: v_dual_bitop2_b32 v18, v29, v48 bitop3:0x14
	s_delay_alu instid0(VALU_DEP_1) | instskip(NEXT) | instid1(VALU_DEP_1)
	v_xor_b32_e32 v16, v18, v27
	v_cndmask_b32_e64 v35, 0, v16, s0
	v_cndmask_b32_e64 v16, 1.0, -1.0, s0
	s_delay_alu instid0(VALU_DEP_2) | instskip(SKIP_3) | instid1(VALU_DEP_3)
	v_xor_b32_e32 v19, v35, v18
	v_xor_b32_e32 v18, v37, v20
	;; [unrolled: 1-line block ×4, first 2 shown]
	v_pk_mul_f32 v[50:51], v[16:17], v[18:19] op_sel_hi:[0,1]
	s_delay_alu instid0(VALU_DEP_1) | instskip(NEXT) | instid1(VALU_DEP_2)
	v_dual_mul_f32 v19, v50, v50 :: v_dual_bitop2_b32 v17, v39, v17 bitop3:0x14
	v_max3_num_f32 v18, -v51, v51, 0x2b8cbccc
	v_cndmask_b32_e64 v25, v25, v28, s0
	v_cndmask_b32_e64 v28, 1.0, -1.0, s1
	s_delay_alu instid0(VALU_DEP_4) | instskip(SKIP_1) | instid1(VALU_DEP_1)
	v_cmp_le_f32_e32 vcc_lo, 0x2b8cbccc, v19
	v_cndmask_b32_e32 v19, 0, v50, vcc_lo
	v_pk_mul_f32 v[20:21], v[18:19], v[18:19]
	s_delay_alu instid0(VALU_DEP_1) | instskip(NEXT) | instid1(VALU_DEP_1)
	v_add_f32_e32 v20, v20, v21
	v_cmp_gt_f32_e32 vcc_lo, 0xf800000, v20
	v_mul_f32_e32 v21, 0x4f800000, v20
	s_delay_alu instid0(VALU_DEP_1) | instskip(NEXT) | instid1(VALU_DEP_1)
	v_cndmask_b32_e32 v21, v20, v21, vcc_lo
	v_sqrt_f32_e32 v30, v21
	v_nop
	s_delay_alu instid0(TRANS32_DEP_1) | instskip(NEXT) | instid1(VALU_DEP_1)
	v_add_nc_u32_e32 v45, -1, v30
	v_fma_f32 v47, -v45, v30, v21
	s_delay_alu instid0(VALU_DEP_1) | instskip(NEXT) | instid1(VALU_DEP_1)
	v_cmp_ge_f32_e64 s2, 0, v47
	v_dual_add_nc_u32 v47, 1, v30 :: v_dual_cndmask_b32 v45, v30, v45, s2
	s_delay_alu instid0(VALU_DEP_1) | instskip(NEXT) | instid1(VALU_DEP_1)
	v_fma_f32 v30, -v47, v30, v21
	v_cmp_lt_f32_e64 s2, 0, v30
	s_delay_alu instid0(VALU_DEP_1) | instskip(NEXT) | instid1(VALU_DEP_1)
	v_cndmask_b32_e64 v30, v45, v47, s2
	v_mul_f32_e32 v45, 0x37800000, v30
	s_delay_alu instid0(VALU_DEP_1) | instskip(SKIP_1) | instid1(VALU_DEP_2)
	v_cndmask_b32_e32 v30, v30, v45, vcc_lo
	v_cmp_class_f32_e64 vcc_lo, v21, 0x260
	v_cndmask_b32_e32 v21, v30, v21, vcc_lo
	s_delay_alu instid0(VALU_DEP_1) | instskip(NEXT) | instid1(VALU_DEP_1)
	v_div_scale_f32 v30, null, v21, v21, 1.0
	v_rcp_f32_e32 v45, v30
	v_nop
	s_delay_alu instid0(TRANS32_DEP_1) | instskip(NEXT) | instid1(VALU_DEP_1)
	v_fma_f32 v47, -v30, v45, 1.0
	v_fmac_f32_e32 v45, v47, v45
	v_div_scale_f32 v47, vcc_lo, 1.0, v21, 1.0
	s_delay_alu instid0(VALU_DEP_1) | instskip(NEXT) | instid1(VALU_DEP_1)
	v_mul_f32_e32 v48, v47, v45
	v_fma_f32 v52, -v30, v48, v47
	s_delay_alu instid0(VALU_DEP_1) | instskip(NEXT) | instid1(VALU_DEP_1)
	v_fmac_f32_e32 v48, v52, v45
	v_fma_f32 v30, -v30, v48, v47
	s_delay_alu instid0(VALU_DEP_1) | instskip(SKIP_1) | instid1(VALU_DEP_2)
	v_div_fmas_f32 v30, v30, v45, v48
	v_cmp_le_f32_e32 vcc_lo, 0, v51
	v_div_fixup_f32 v21, v30, v21, 1.0
	s_delay_alu instid0(VALU_DEP_1) | instskip(NEXT) | instid1(VALU_DEP_1)
	v_mul_f32_e32 v30, 0.5, v21
	v_mul_f32_e32 v30, v21, v30
	s_delay_alu instid0(VALU_DEP_1) | instskip(NEXT) | instid1(VALU_DEP_1)
	v_dual_mul_f32 v30, v21, v30 :: v_dual_fmac_f32 v21, 0.5, v21
	v_fma_f32 v21, -v20, v30, v21
	s_delay_alu instid0(VALU_DEP_1) | instskip(NEXT) | instid1(VALU_DEP_1)
	v_fmac_f32_e32 v18, v20, v21
	v_dual_cndmask_b32 v21, v19, v18 :: v_dual_cndmask_b32 v20, v18, v19
	s_delay_alu instid0(VALU_DEP_1) | instskip(NEXT) | instid1(VALU_DEP_1)
	v_pk_mul_f32 v[18:19], v[20:21], v[20:21]
	v_add_f32_e32 v18, v19, v18
	s_delay_alu instid0(VALU_DEP_1) | instskip(SKIP_1) | instid1(VALU_DEP_1)
	v_cmp_gt_f32_e32 vcc_lo, 0xf800000, v18
	v_mul_f32_e32 v19, 0x4f800000, v18
	v_cndmask_b32_e32 v19, v18, v19, vcc_lo
	s_delay_alu instid0(VALU_DEP_1) | instskip(SKIP_1) | instid1(TRANS32_DEP_1)
	v_sqrt_f32_e32 v30, v19
	v_nop
	v_add_nc_u32_e32 v45, -1, v30
	s_delay_alu instid0(VALU_DEP_1) | instskip(NEXT) | instid1(VALU_DEP_1)
	v_fma_f32 v47, -v45, v30, v19
	v_cmp_ge_f32_e64 s2, 0, v47
	s_delay_alu instid0(VALU_DEP_1) | instskip(NEXT) | instid1(VALU_DEP_1)
	v_dual_add_nc_u32 v47, 1, v30 :: v_dual_cndmask_b32 v45, v30, v45, s2
	v_fma_f32 v30, -v47, v30, v19
	s_delay_alu instid0(VALU_DEP_1) | instskip(NEXT) | instid1(VALU_DEP_1)
	v_cmp_lt_f32_e64 s2, 0, v30
	v_cndmask_b32_e64 v30, v45, v47, s2
	s_delay_alu instid0(VALU_DEP_1) | instskip(NEXT) | instid1(VALU_DEP_1)
	v_mul_f32_e32 v45, 0x37800000, v30
	v_cndmask_b32_e32 v30, v30, v45, vcc_lo
	v_cmp_class_f32_e64 vcc_lo, v19, 0x260
	s_delay_alu instid0(VALU_DEP_2) | instskip(NEXT) | instid1(VALU_DEP_1)
	v_cndmask_b32_e32 v19, v30, v19, vcc_lo
	v_div_scale_f32 v30, null, v19, v19, 1.0
	s_delay_alu instid0(VALU_DEP_1) | instskip(SKIP_1) | instid1(TRANS32_DEP_1)
	v_rcp_f32_e32 v45, v30
	v_nop
	v_fma_f32 v47, -v30, v45, 1.0
	s_delay_alu instid0(VALU_DEP_1) | instskip(SKIP_1) | instid1(VALU_DEP_1)
	v_fmac_f32_e32 v45, v47, v45
	v_div_scale_f32 v47, vcc_lo, 1.0, v19, 1.0
	v_mul_f32_e32 v48, v47, v45
	s_delay_alu instid0(VALU_DEP_1) | instskip(NEXT) | instid1(VALU_DEP_1)
	v_fma_f32 v52, -v30, v48, v47
	v_fmac_f32_e32 v48, v52, v45
	s_delay_alu instid0(VALU_DEP_1) | instskip(NEXT) | instid1(VALU_DEP_1)
	v_fma_f32 v30, -v30, v48, v47
	v_div_fmas_f32 v30, v30, v45, v48
	s_delay_alu instid0(VALU_DEP_1) | instskip(NEXT) | instid1(VALU_DEP_1)
	v_div_fixup_f32 v19, v30, v19, 1.0
	v_mul_f32_e32 v30, 0.5, v19
	s_delay_alu instid0(VALU_DEP_1) | instskip(NEXT) | instid1(VALU_DEP_1)
	v_mul_f32_e32 v30, v19, v30
	v_dual_mul_f32 v30, v19, v30 :: v_dual_fmac_f32 v19, 0.5, v19
	s_delay_alu instid0(VALU_DEP_1) | instskip(NEXT) | instid1(VALU_DEP_1)
	v_fma_f32 v18, -v18, v30, v19
	v_pk_mul_f32 v[18:19], v[20:21], v[18:19] op_sel_hi:[1,0]
	s_delay_alu instid0(VALU_DEP_1) | instskip(NEXT) | instid1(VALU_DEP_1)
	v_pk_mul_f32 v[52:53], v[18:19], v[18:19] op_sel_hi:[0,1]
	v_pk_fma_f32 v[20:21], v[18:19], v[18:19], v[52:53] op_sel:[1,1,0] op_sel_hi:[0,1,1]
	v_pk_fma_f32 v[18:19], v[18:19], v[18:19], v[52:53] op_sel:[1,1,0] op_sel_hi:[0,1,1] neg_lo:[0,0,1] neg_hi:[0,0,1]
	s_delay_alu instid0(VALU_DEP_2) | instskip(NEXT) | instid1(VALU_DEP_1)
	v_dual_mov_b32 v30, v21 :: v_dual_bitop2_b32 v19, v32, v22 bitop3:0x14
	v_xor_b32_e32 v20, v19, v24
	s_delay_alu instid0(VALU_DEP_1) | instskip(NEXT) | instid1(VALU_DEP_1)
	v_dual_cndmask_b32 v22, 0, v20, s0 :: v_dual_bitop2_b32 v48, v42, v31 bitop3:0x14
	v_xor_b32_e32 v19, v22, v19
	s_delay_alu instid0(VALU_DEP_1) | instskip(NEXT) | instid1(VALU_DEP_1)
	v_dual_mov_b32 v31, v18 :: v_dual_mul_f32 v29, v16, v19
	v_pk_mul_f32 v[30:31], v[50:51], v[30:31]
	s_delay_alu instid0(VALU_DEP_1) | instskip(NEXT) | instid1(VALU_DEP_1)
	v_dual_mul_f32 v19, v29, v29 :: v_dual_add_f32 v30, v31, v30
	v_cmp_le_f32_e32 vcc_lo, 0x2b8cbccc, v19
	s_delay_alu instid0(VALU_DEP_2) | instskip(SKIP_1) | instid1(VALU_DEP_1)
	v_max3_num_f32 v51, -v30, v30, 0x2b8cbccc
	v_cndmask_b32_e32 v50, 0, v29, vcc_lo
	v_pk_mul_f32 v[52:53], v[50:51], v[50:51]
	s_delay_alu instid0(VALU_DEP_1) | instskip(NEXT) | instid1(VALU_DEP_1)
	v_add_f32_e32 v19, v52, v53
	v_cmp_gt_f32_e32 vcc_lo, 0xf800000, v19
	v_mul_f32_e32 v20, 0x4f800000, v19
	s_delay_alu instid0(VALU_DEP_1) | instskip(NEXT) | instid1(VALU_DEP_1)
	v_cndmask_b32_e32 v20, v19, v20, vcc_lo
	v_sqrt_f32_e32 v31, v20
	v_nop
	s_delay_alu instid0(TRANS32_DEP_1) | instskip(NEXT) | instid1(VALU_DEP_1)
	v_add_nc_u32_e32 v42, -1, v31
	v_fma_f32 v45, -v42, v31, v20
	s_delay_alu instid0(VALU_DEP_1) | instskip(NEXT) | instid1(VALU_DEP_1)
	v_cmp_ge_f32_e64 s2, 0, v45
	v_dual_add_nc_u32 v45, 1, v31 :: v_dual_cndmask_b32 v42, v31, v42, s2
	s_delay_alu instid0(VALU_DEP_1) | instskip(NEXT) | instid1(VALU_DEP_1)
	v_fma_f32 v31, -v45, v31, v20
	v_cmp_lt_f32_e64 s2, 0, v31
	s_delay_alu instid0(VALU_DEP_1) | instskip(NEXT) | instid1(VALU_DEP_1)
	v_cndmask_b32_e64 v31, v42, v45, s2
	v_mul_f32_e32 v42, 0x37800000, v31
	s_delay_alu instid0(VALU_DEP_1) | instskip(SKIP_1) | instid1(VALU_DEP_2)
	v_cndmask_b32_e32 v31, v31, v42, vcc_lo
	v_cmp_class_f32_e64 vcc_lo, v20, 0x260
	v_cndmask_b32_e32 v20, v31, v20, vcc_lo
	s_delay_alu instid0(VALU_DEP_1) | instskip(NEXT) | instid1(VALU_DEP_1)
	v_div_scale_f32 v31, null, v20, v20, 1.0
	v_rcp_f32_e32 v42, v31
	v_nop
	s_delay_alu instid0(TRANS32_DEP_1) | instskip(NEXT) | instid1(VALU_DEP_1)
	v_fma_f32 v45, -v31, v42, 1.0
	v_fmac_f32_e32 v42, v45, v42
	v_div_scale_f32 v45, vcc_lo, 1.0, v20, 1.0
	s_delay_alu instid0(VALU_DEP_1) | instskip(NEXT) | instid1(VALU_DEP_1)
	v_mul_f32_e32 v47, v45, v42
	v_fma_f32 v52, -v31, v47, v45
	s_delay_alu instid0(VALU_DEP_1) | instskip(NEXT) | instid1(VALU_DEP_1)
	v_fmac_f32_e32 v47, v52, v42
	v_fma_f32 v31, -v31, v47, v45
	s_delay_alu instid0(VALU_DEP_1) | instskip(SKIP_1) | instid1(VALU_DEP_2)
	v_div_fmas_f32 v31, v31, v42, v47
	v_cmp_le_f32_e32 vcc_lo, 0, v30
	v_div_fixup_f32 v20, v31, v20, 1.0
	s_delay_alu instid0(VALU_DEP_1) | instskip(NEXT) | instid1(VALU_DEP_1)
	v_mul_f32_e32 v31, 0.5, v20
	v_mul_f32_e32 v31, v20, v31
	s_delay_alu instid0(VALU_DEP_1) | instskip(NEXT) | instid1(VALU_DEP_1)
	v_dual_mul_f32 v31, v20, v31 :: v_dual_fmac_f32 v20, 0.5, v20
	v_fma_f32 v20, -v19, v31, v20
	s_delay_alu instid0(VALU_DEP_1) | instskip(NEXT) | instid1(VALU_DEP_1)
	v_fmac_f32_e32 v51, v19, v20
	v_dual_cndmask_b32 v20, v51, v50 :: v_dual_cndmask_b32 v19, v50, v51
	s_delay_alu instid0(VALU_DEP_1) | instskip(NEXT) | instid1(VALU_DEP_1)
	v_mul_f32_e32 v31, v20, v20
	v_fmac_f32_e32 v31, v19, v19
	s_delay_alu instid0(VALU_DEP_1) | instskip(SKIP_1) | instid1(VALU_DEP_1)
	v_cmp_gt_f32_e32 vcc_lo, 0xf800000, v31
	v_mul_f32_e32 v39, 0x4f800000, v31
	v_cndmask_b32_e32 v39, v31, v39, vcc_lo
	s_delay_alu instid0(VALU_DEP_1) | instskip(SKIP_1) | instid1(TRANS32_DEP_1)
	v_sqrt_f32_e32 v42, v39
	v_nop
	v_add_nc_u32_e32 v45, -1, v42
	s_delay_alu instid0(VALU_DEP_1) | instskip(NEXT) | instid1(VALU_DEP_1)
	v_fma_f32 v47, -v45, v42, v39
	v_cmp_ge_f32_e64 s2, 0, v47
	s_delay_alu instid0(VALU_DEP_1) | instskip(NEXT) | instid1(VALU_DEP_1)
	v_dual_add_nc_u32 v47, 1, v42 :: v_dual_cndmask_b32 v45, v42, v45, s2
	v_fma_f32 v42, -v47, v42, v39
	s_delay_alu instid0(VALU_DEP_1) | instskip(NEXT) | instid1(VALU_DEP_1)
	v_cmp_lt_f32_e64 s2, 0, v42
	v_cndmask_b32_e64 v42, v45, v47, s2
	v_cmp_gt_f32_e64 s2, v25, v17
	s_delay_alu instid0(VALU_DEP_2) | instskip(NEXT) | instid1(VALU_DEP_1)
	v_mul_f32_e32 v45, 0x37800000, v42
	v_cndmask_b32_e32 v42, v42, v45, vcc_lo
	v_cmp_class_f32_e64 vcc_lo, v39, 0x260
	s_delay_alu instid0(VALU_DEP_2) | instskip(NEXT) | instid1(VALU_DEP_1)
	v_cndmask_b32_e32 v39, v42, v39, vcc_lo
	v_div_scale_f32 v26, null, v39, v39, 1.0
	s_delay_alu instid0(VALU_DEP_1) | instskip(SKIP_1) | instid1(TRANS32_DEP_1)
	v_rcp_f32_e32 v27, v26
	v_nop
	v_fma_f32 v42, -v26, v27, 1.0
	s_delay_alu instid0(VALU_DEP_1) | instskip(SKIP_1) | instid1(VALU_DEP_1)
	v_fmac_f32_e32 v27, v42, v27
	v_div_scale_f32 v42, vcc_lo, 1.0, v39, 1.0
	v_mul_f32_e32 v45, v42, v27
	s_delay_alu instid0(VALU_DEP_1) | instskip(NEXT) | instid1(VALU_DEP_1)
	v_fma_f32 v47, -v26, v45, v42
	v_fmac_f32_e32 v45, v47, v27
	s_delay_alu instid0(VALU_DEP_1) | instskip(NEXT) | instid1(VALU_DEP_1)
	v_fma_f32 v26, -v26, v45, v42
	v_div_fmas_f32 v42, v26, v27, v45
	v_pk_mul_f32 v[26:27], v[28:29], v[48:49] op_sel_hi:[0,1]
	v_mov_b32_e32 v49, v18
	s_delay_alu instid0(VALU_DEP_3) | instskip(NEXT) | instid1(VALU_DEP_3)
	v_div_fixup_f32 v39, v42, v39, 1.0
	v_xor_b32_e32 v25, v37, v26
	s_delay_alu instid0(VALU_DEP_4) | instskip(NEXT) | instid1(VALU_DEP_2)
	v_xor_b32_e32 v42, v35, v27
	v_dual_mul_f32 v17, 0.5, v39 :: v_dual_cndmask_b32 v45, 0, v25, s2
	s_delay_alu instid0(VALU_DEP_1) | instskip(NEXT) | instid1(VALU_DEP_1)
	v_dual_cndmask_b32 v42, 0, v42, s2 :: v_dual_mul_f32 v17, v39, v17
	v_dual_mul_f32 v17, v39, v17 :: v_dual_fmac_f32 v39, 0.5, v39
	v_xor_b32_e32 v23, v32, v23
	s_delay_alu instid0(VALU_DEP_2) | instskip(NEXT) | instid1(VALU_DEP_2)
	v_dual_fma_f32 v17, -v31, v17, v39 :: v_dual_bitop2_b32 v26, v45, v26 bitop3:0x14
	v_dual_mul_f32 v31, v28, v23 :: v_dual_bitop2_b32 v39, v22, v24 bitop3:0x14
	s_delay_alu instid0(VALU_DEP_2) | instskip(SKIP_1) | instid1(VALU_DEP_2)
	v_dual_mov_b32 v23, v26 :: v_dual_mul_f32 v20, v20, v17
	v_dual_mul_f32 v48, v19, v17 :: v_dual_bitop2_b32 v27, v42, v27 bitop3:0x14
	v_dual_mov_b32 v22, v20 :: v_dual_bitop2_b32 v17, v39, v31 bitop3:0x14
	s_delay_alu instid0(VALU_DEP_2) | instskip(NEXT) | instid1(VALU_DEP_2)
	v_dual_mov_b32 v51, v27 :: v_dual_mov_b32 v50, v48
	v_dual_cndmask_b32 v47, 0, v17, s2 :: v_dual_mul_f32 v17, v20, v48
	s_delay_alu instid0(VALU_DEP_3) | instskip(NEXT) | instid1(VALU_DEP_1)
	v_pk_mul_f32 v[22:23], v[20:21], v[22:23]
	v_pk_fma_f32 v[24:25], v[48:49], v[50:51], v[22:23] neg_lo:[0,0,1] neg_hi:[0,0,1]
	v_pk_fma_f32 v[50:51], v[48:49], v[50:51], v[22:23]
	s_delay_alu instid0(VALU_DEP_4) | instskip(NEXT) | instid1(VALU_DEP_2)
	v_dual_add_f32 v23, v17, v17 :: v_dual_bitop2_b32 v22, v47, v31 bitop3:0x14
	v_mov_b32_e32 v25, v51
	s_delay_alu instid0(VALU_DEP_1) | instskip(NEXT) | instid1(VALU_DEP_1)
	v_pk_mul_f32 v[48:49], v[24:25], v[22:23]
	v_dual_mov_b32 v19, v21 :: v_dual_sub_f32 v17, v48, v49
	s_delay_alu instid0(VALU_DEP_1) | instskip(NEXT) | instid1(VALU_DEP_1)
	v_pk_mul_f32 v[26:27], v[18:19], v[26:27]
	v_dual_mul_f32 v19, v17, v17 :: v_dual_sub_f32 v20, v26, v27
	s_delay_alu instid0(VALU_DEP_1) | instskip(NEXT) | instid1(VALU_DEP_2)
	v_cmp_le_f32_e32 vcc_lo, 0x2b8cbccc, v19
	v_max3_num_f32 v22, -v20, v20, 0x2b8cbccc
	v_cndmask_b32_e32 v19, 0, v17, vcc_lo
	s_delay_alu instid0(VALU_DEP_1) | instskip(NEXT) | instid1(VALU_DEP_1)
	v_mul_f32_e32 v25, v19, v19
	v_fmac_f32_e32 v25, v22, v22
	s_delay_alu instid0(VALU_DEP_1) | instskip(SKIP_1) | instid1(VALU_DEP_2)
	v_mul_f32_e32 v26, 0x4f800000, v25
	v_cmp_gt_f32_e32 vcc_lo, 0xf800000, v25
	v_cndmask_b32_e32 v26, v25, v26, vcc_lo
	s_delay_alu instid0(VALU_DEP_1) | instskip(SKIP_1) | instid1(TRANS32_DEP_1)
	v_sqrt_f32_e32 v27, v26
	v_nop
	v_add_nc_u32_e32 v31, -1, v27
	s_delay_alu instid0(VALU_DEP_1) | instskip(NEXT) | instid1(VALU_DEP_1)
	v_fma_f32 v32, -v31, v27, v26
	v_cmp_ge_f32_e64 s3, 0, v32
	v_add_nc_u32_e32 v32, 1, v27
	s_delay_alu instid0(VALU_DEP_2) | instskip(NEXT) | instid1(VALU_DEP_2)
	v_cndmask_b32_e64 v31, v27, v31, s3
	v_fma_f32 v27, -v32, v27, v26
	s_delay_alu instid0(VALU_DEP_1) | instskip(NEXT) | instid1(VALU_DEP_1)
	v_cmp_lt_f32_e64 s3, 0, v27
	v_cndmask_b32_e64 v27, v31, v32, s3
	s_delay_alu instid0(VALU_DEP_1) | instskip(NEXT) | instid1(VALU_DEP_1)
	v_mul_f32_e32 v31, 0x37800000, v27
	v_cndmask_b32_e32 v27, v27, v31, vcc_lo
	v_cmp_class_f32_e64 vcc_lo, v26, 0x260
	s_delay_alu instid0(VALU_DEP_2) | instskip(NEXT) | instid1(VALU_DEP_1)
	v_cndmask_b32_e32 v26, v27, v26, vcc_lo
	v_div_scale_f32 v27, null, v26, v26, 1.0
	s_delay_alu instid0(VALU_DEP_1) | instskip(SKIP_1) | instid1(TRANS32_DEP_1)
	v_rcp_f32_e32 v31, v27
	v_nop
	v_fma_f32 v32, -v27, v31, 1.0
	s_delay_alu instid0(VALU_DEP_1) | instskip(SKIP_1) | instid1(VALU_DEP_1)
	v_fmac_f32_e32 v31, v32, v31
	v_div_scale_f32 v32, vcc_lo, 1.0, v26, 1.0
	v_mul_f32_e32 v48, v32, v31
	s_delay_alu instid0(VALU_DEP_1) | instskip(NEXT) | instid1(VALU_DEP_1)
	v_fma_f32 v49, -v27, v48, v32
	v_fmac_f32_e32 v48, v49, v31
	s_delay_alu instid0(VALU_DEP_1) | instskip(NEXT) | instid1(VALU_DEP_1)
	v_dual_fma_f32 v27, -v27, v48, v32 :: v_dual_bitop2_b32 v32, v33, v38 bitop3:0x14
	v_div_fmas_f32 v27, v27, v31, v48
	v_cmp_le_f32_e32 vcc_lo, 0, v20
	v_add_nc_u32_e32 v48, s8, v0
	v_lshl_add_u64 v[0:1], v[0:1], 2, s[6:7]
	s_delay_alu instid0(VALU_DEP_4) | instskip(NEXT) | instid1(VALU_DEP_1)
	v_div_fixup_f32 v26, v27, v26, 1.0
	v_dual_add_nc_u32 v49, s8, v48 :: v_dual_mul_f32 v27, 0.5, v26
	s_delay_alu instid0(VALU_DEP_1) | instskip(NEXT) | instid1(VALU_DEP_1)
	v_dual_add_nc_u32 v51, s8, v49 :: v_dual_mul_f32 v27, v26, v27
	v_dual_mul_f32 v27, v26, v27 :: v_dual_fmac_f32 v26, 0.5, v26
	s_delay_alu instid0(VALU_DEP_1) | instskip(NEXT) | instid1(VALU_DEP_1)
	v_fma_f32 v26, -v25, v27, v26
	v_dual_fmac_f32 v22, v25, v26 :: v_dual_bitop2_b32 v26, v36, v43 bitop3:0x14
	s_delay_alu instid0(VALU_DEP_1) | instskip(NEXT) | instid1(VALU_DEP_1)
	v_dual_cndmask_b32 v25, v19, v22, vcc_lo :: v_dual_cndmask_b32 v19, v22, v19, vcc_lo
	v_dual_cndmask_b32 v26, 0, v26, s1 :: v_dual_mul_f32 v22, v19, v19
	s_delay_alu instid0(VALU_DEP_1) | instskip(NEXT) | instid1(VALU_DEP_1)
	v_dual_fmac_f32 v22, v25, v25 :: v_dual_bitop2_b32 v31, v26, v36 bitop3:0x14
	v_mul_f32_e32 v27, 0x4f800000, v22
	v_cmp_gt_f32_e32 vcc_lo, 0xf800000, v22
	s_delay_alu instid0(VALU_DEP_2) | instskip(SKIP_1) | instid1(VALU_DEP_2)
	v_dual_cndmask_b32 v36, v22, v27, vcc_lo :: v_dual_cndmask_b32 v27, 0, v32, s1
	v_xor_b32_e32 v32, v26, v43
	v_sqrt_f32_e32 v43, v36
	v_xor_b32_e32 v26, v46, v44
	s_delay_alu instid0(VALU_DEP_3)
	v_xor_b32_e32 v38, v27, v38
	v_dual_add_nc_u32 v52, s8, v51 :: v_dual_bitop2_b32 v33, v27, v33 bitop3:0x14
	s_delay_alu instid0(TRANS32_DEP_1) | instid1(VALU_DEP_2)
	v_dual_add_nc_u32 v27, -1, v43 :: v_dual_bitop2_b32 v53, v38, v34 bitop3:0x14
	s_delay_alu instid0(VALU_DEP_4) | instskip(NEXT) | instid1(VALU_DEP_1)
	v_dual_add_nc_u32 v50, 1, v43 :: v_dual_cndmask_b32 v26, 0, v26, s1
	v_xor_b32_e32 v46, v26, v46
	s_delay_alu instid0(VALU_DEP_3) | instskip(SKIP_1) | instid1(VALU_DEP_3)
	v_dual_fma_f32 v26, -v27, v43, v36 :: v_dual_bitop2_b32 v44, v26, v44 bitop3:0x14
	v_mul_f32_e32 v54, v28, v33
	v_xor_b32_e32 v55, v46, v41
	v_xor_b32_e32 v33, v31, v40
	s_delay_alu instid0(VALU_DEP_4) | instskip(SKIP_1) | instid1(VALU_DEP_2)
	v_cmp_ge_f32_e64 s1, 0, v26
	v_fma_f32 v26, -v50, v43, v36
	v_cndmask_b32_e64 v43, v43, v27, s1
	s_delay_alu instid0(VALU_DEP_2) | instskip(SKIP_3) | instid1(VALU_DEP_4)
	v_cmp_lt_f32_e64 s1, 0, v26
	v_lshl_add_u64 v[26:27], v[10:11], 2, s[6:7]
	v_lshl_add_u64 v[10:11], v[12:13], 2, s[6:7]
	v_dual_cndmask_b32 v12, 0, v53, s0 :: v_dual_mul_f32 v53, v28, v32
	v_dual_cndmask_b32 v43, v43, v50, s1 :: v_dual_add_nc_u32 v50, s8, v52
	v_mul_f32_e32 v28, v28, v44
	s_delay_alu instid0(VALU_DEP_3) | instskip(NEXT) | instid1(VALU_DEP_3)
	v_xor_b32_e32 v38, v12, v38
	v_add_nc_u32_e32 v44, s8, v50
	s_delay_alu instid0(VALU_DEP_4) | instskip(SKIP_2) | instid1(VALU_DEP_3)
	v_mul_f32_e32 v32, 0x37800000, v43
	v_xor_b32_e32 v34, v12, v34
	v_lshl_add_u64 v[12:13], v[14:15], 2, s[6:7]
	v_cndmask_b32_e32 v14, v43, v32, vcc_lo
	v_cmp_class_f32_e64 vcc_lo, v36, 0x260
	v_dual_add_nc_u32 v43, s8, v44 :: v_dual_cndmask_b32 v32, 0, v55, s0
	v_dual_cndmask_b32 v15, 0, v33, s0 :: v_dual_mul_f32 v38, v16, v38
	s_delay_alu instid0(VALU_DEP_2) | instskip(NEXT) | instid1(VALU_DEP_2)
	v_dual_cndmask_b32 v36, v14, v36 :: v_dual_add_nc_u32 v55, s8, v43
	v_xor_b32_e32 v14, v15, v31
	v_xor_b32_e32 v31, v15, v40
	;; [unrolled: 1-line block ×3, first 2 shown]
	s_delay_alu instid0(VALU_DEP_4) | instskip(SKIP_2) | instid1(VALU_DEP_3)
	v_div_scale_f32 v41, null, v36, v36, 1.0
	v_dual_add_nc_u32 v46, s8, v55 :: v_dual_bitop2_b32 v15, v32, v46 bitop3:0x14
	v_mul_f32_e32 v56, v16, v14
	v_rcp_f32_e32 v57, v41
	v_lshl_add_u64 v[32:33], v[2:3], 2, s[6:7]
	s_delay_alu instid0(VALU_DEP_3)
	v_mul_f32_e32 v16, v16, v15
	v_lshl_add_u64 v[14:15], v[4:5], 2, s[6:7]
	v_lshl_add_u64 v[4:5], v[6:7], 2, s[6:7]
	;; [unrolled: 1-line block ×3, first 2 shown]
	v_xor_b32_e32 v8, v31, v53
	v_fma_f32 v7, -v41, v57, 1.0
	v_xor_b32_e32 v9, v42, v35
	v_div_scale_f32 v35, vcc_lo, 1.0, v36, 1.0
	s_delay_alu instid0(VALU_DEP_3)
	v_dual_fmac_f32 v57, v7, v57 :: v_dual_add_nc_u32 v6, s8, v46
	v_dual_cndmask_b32 v8, 0, v8, s2 :: v_dual_bitop2_b32 v7, v34, v54 bitop3:0x14
	global_store_b32 v52, v56, s[6:7] scale_offset
	v_mul_f32_e32 v42, v35, v57
	v_dual_cndmask_b32 v7, 0, v7, s2 :: v_dual_bitop2_b32 v37, v45, v37 bitop3:0x14
	v_xor_b32_e32 v39, v47, v39
	v_xor_b32_e32 v45, v40, v28
	s_wait_xcnt 0x0
	s_delay_alu instid0(VALU_DEP_3) | instskip(SKIP_4) | instid1(VALU_DEP_1)
	v_xor_b32_e32 v52, v7, v54
	v_xor_b32_e32 v7, v7, v34
	v_dual_add_nc_u32 v34, s8, v6 :: v_dual_bitop2_b32 v47, v8, v53 bitop3:0x14
	v_dual_cndmask_b32 v45, 0, v45, s2 :: v_dual_bitop2_b32 v8, v8, v31 bitop3:0x14
	v_fma_f32 v31, -v41, v42, v35
	v_dual_fmac_f32 v42, v31, v57 :: v_dual_bitop2_b32 v28, v45, v28 bitop3:0x14
	v_cndmask_b32_e64 v31, 1.0, -1.0, s2
	v_dual_add_nc_u32 v45, s8, v34 :: v_dual_bitop2_b32 v40, v45, v40 bitop3:0x14
	s_delay_alu instid0(VALU_DEP_2)
	v_dual_fma_f32 v35, -v41, v42, v35 :: v_dual_mul_f32 v37, v31, v37
	v_dual_mul_f32 v39, v31, v39 :: v_dual_mul_f32 v8, v31, v8
	s_clause 0x1
	global_store_b32 v50, v47, s[6:7] scale_offset
	global_store_b32 v44, v8, s[6:7] scale_offset
	v_div_fmas_f32 v35, v35, v57, v42
	v_dual_mul_f32 v7, v31, v7 :: v_dual_mul_f32 v9, v31, v9
	v_mul_f32_e32 v31, v31, v40
	s_clause 0x3
	global_store_b32 v43, v38, s[6:7] scale_offset
	global_store_b32 v55, v52, s[6:7] scale_offset
	;; [unrolled: 1-line block ×4, first 2 shown]
	s_wait_xcnt 0x4
	v_div_fixup_f32 v8, v35, v36, 1.0
	s_wait_xcnt 0x0
	v_dual_mul_f32 v16, v37, v21 :: v_dual_fma_f32 v35, 0, v18, v21
	s_clause 0x1
	global_store_b32 v34, v28, s[6:7] scale_offset
	global_store_b32 v45, v31, s[6:7] scale_offset
	s_wait_xcnt 0x0
	v_dual_mul_f32 v28, 0, v21 :: v_dual_fma_f32 v31, 0, v21, v18
	v_dual_mul_f32 v6, 0.5, v8 :: v_dual_mul_f32 v7, v9, v21
	v_fma_f32 v34, v18, 0, -v21
	v_fmamk_f32 v21, v21, 0x80000000, v18
	v_fmac_f32_e32 v16, v9, v18
	s_delay_alu instid0(VALU_DEP_4) | instskip(SKIP_1) | instid1(VALU_DEP_2)
	v_mul_f32_e32 v6, v8, v6
	v_dual_fma_f32 v7, v37, v18, -v7 :: v_dual_fma_f32 v9, 0, v18, v28
	v_dual_mul_f32 v6, v8, v6 :: v_dual_fmac_f32 v8, 0.5, v8
	s_delay_alu instid0(VALU_DEP_2) | instskip(NEXT) | instid1(VALU_DEP_2)
	v_dual_fma_f32 v36, v9, v24, v23 :: v_dual_fma_f32 v9, -v9, v23, v24
	v_fma_f32 v6, -v22, v6, v8
	v_fma_f32 v8, v18, 0, -v28
	v_dual_mul_f32 v18, 0, v23 :: v_dual_mul_f32 v16, v16, v23
	s_delay_alu instid0(VALU_DEP_3) | instskip(SKIP_1) | instid1(VALU_DEP_3)
	v_dual_mul_f32 v22, v30, v24 :: v_dual_mul_f32 v25, v25, v6
	v_dual_mul_f32 v6, v19, v6 :: v_dual_mul_f32 v19, 0, v24
	v_fma_f32 v16, v39, v24, -v16
	s_delay_alu instid0(VALU_DEP_4) | instskip(NEXT) | instid1(VALU_DEP_3)
	v_fma_f32 v28, v31, v24, v18
	v_dual_fmac_f32 v18, v35, v24 :: v_dual_mul_f32 v30, v6, v25
	v_dual_fmac_f32 v22, v29, v23 :: v_dual_mul_f32 v6, v6, v6
	v_fma_f32 v29, -v31, v23, v19
	s_delay_alu instid0(VALU_DEP_3)
	v_dual_fma_f32 v19, -v35, v23, v19 :: v_dual_add_f32 v24, v30, v30
	global_store_b32 v[32:33], v28, off
	v_fma_f32 v6, v25, v25, -v6
	v_dual_mul_f32 v17, v17, v24 :: v_dual_mul_f32 v7, v7, v24
	v_dual_mul_f32 v23, v34, v24 :: v_dual_mul_f32 v25, v29, v24
	s_wait_xcnt 0x0
	v_dual_mul_f32 v28, v21, v24 :: v_dual_mul_f32 v30, v19, v24
	v_dual_mul_f32 v31, v8, v24 :: v_dual_mul_f32 v24, v9, v24
	s_delay_alu instid0(VALU_DEP_3) | instskip(SKIP_1) | instid1(VALU_DEP_4)
	v_dual_fma_f32 v7, v16, v6, -v7 :: v_dual_fmac_f32 v25, v34, v6
	v_dual_fmac_f32 v17, v20, v6 :: v_dual_fma_f32 v16, v29, v6, -v23
	v_dual_fmac_f32 v30, v21, v6 :: v_dual_fma_f32 v19, v19, v6, -v28
	s_delay_alu instid0(VALU_DEP_4)
	v_dual_fmac_f32 v24, v8, v6 :: v_dual_fma_f32 v6, v9, v6, -v31
	s_clause 0xa
	global_store_b32 v58, v25, s[6:7] scale_offset
	global_store_b32 v[14:15], v16, off
	global_store_b32 v[26:27], v18, off
	;; [unrolled: 1-line block ×7, first 2 shown]
	global_store_b32 v48, v22, s[6:7] scale_offset
	global_store_b32 v49, v17, s[6:7] scale_offset
	;; [unrolled: 1-line block ×3, first 2 shown]
.LBB0_4:
	s_sendmsg sendmsg(MSG_DEALLOC_VGPRS)
	s_endpgm
	.section	.rodata,"a",@progbits
	.p2align	6, 0x0
	.amdhsa_kernel _Z8svd3_SOAPKfPfi
		.amdhsa_group_segment_fixed_size 0
		.amdhsa_private_segment_fixed_size 0
		.amdhsa_kernarg_size 280
		.amdhsa_user_sgpr_count 2
		.amdhsa_user_sgpr_dispatch_ptr 0
		.amdhsa_user_sgpr_queue_ptr 0
		.amdhsa_user_sgpr_kernarg_segment_ptr 1
		.amdhsa_user_sgpr_dispatch_id 0
		.amdhsa_user_sgpr_kernarg_preload_length 0
		.amdhsa_user_sgpr_kernarg_preload_offset 0
		.amdhsa_user_sgpr_private_segment_size 0
		.amdhsa_wavefront_size32 1
		.amdhsa_uses_dynamic_stack 0
		.amdhsa_enable_private_segment 0
		.amdhsa_system_sgpr_workgroup_id_x 1
		.amdhsa_system_sgpr_workgroup_id_y 0
		.amdhsa_system_sgpr_workgroup_id_z 0
		.amdhsa_system_sgpr_workgroup_info 0
		.amdhsa_system_vgpr_workitem_id 0
		.amdhsa_next_free_vgpr 70
		.amdhsa_next_free_sgpr 10
		.amdhsa_named_barrier_count 0
		.amdhsa_reserve_vcc 1
		.amdhsa_float_round_mode_32 0
		.amdhsa_float_round_mode_16_64 0
		.amdhsa_float_denorm_mode_32 3
		.amdhsa_float_denorm_mode_16_64 3
		.amdhsa_fp16_overflow 0
		.amdhsa_memory_ordered 1
		.amdhsa_forward_progress 1
		.amdhsa_inst_pref_size 55
		.amdhsa_round_robin_scheduling 0
		.amdhsa_exception_fp_ieee_invalid_op 0
		.amdhsa_exception_fp_denorm_src 0
		.amdhsa_exception_fp_ieee_div_zero 0
		.amdhsa_exception_fp_ieee_overflow 0
		.amdhsa_exception_fp_ieee_underflow 0
		.amdhsa_exception_fp_ieee_inexact 0
		.amdhsa_exception_int_div_zero 0
	.end_amdhsa_kernel
	.text
.Lfunc_end0:
	.size	_Z8svd3_SOAPKfPfi, .Lfunc_end0-_Z8svd3_SOAPKfPfi
                                        ; -- End function
	.set _Z8svd3_SOAPKfPfi.num_vgpr, 70
	.set _Z8svd3_SOAPKfPfi.num_agpr, 0
	.set _Z8svd3_SOAPKfPfi.numbered_sgpr, 10
	.set _Z8svd3_SOAPKfPfi.num_named_barrier, 0
	.set _Z8svd3_SOAPKfPfi.private_seg_size, 0
	.set _Z8svd3_SOAPKfPfi.uses_vcc, 1
	.set _Z8svd3_SOAPKfPfi.uses_flat_scratch, 0
	.set _Z8svd3_SOAPKfPfi.has_dyn_sized_stack, 0
	.set _Z8svd3_SOAPKfPfi.has_recursion, 0
	.set _Z8svd3_SOAPKfPfi.has_indirect_call, 0
	.section	.AMDGPU.csdata,"",@progbits
; Kernel info:
; codeLenInByte = 7036
; TotalNumSgprs: 12
; NumVgprs: 70
; ScratchSize: 0
; MemoryBound: 0
; FloatMode: 240
; IeeeMode: 1
; LDSByteSize: 0 bytes/workgroup (compile time only)
; SGPRBlocks: 0
; VGPRBlocks: 4
; NumSGPRsForWavesPerEU: 12
; NumVGPRsForWavesPerEU: 70
; NamedBarCnt: 0
; Occupancy: 12
; WaveLimiterHint : 0
; COMPUTE_PGM_RSRC2:SCRATCH_EN: 0
; COMPUTE_PGM_RSRC2:USER_SGPR: 2
; COMPUTE_PGM_RSRC2:TRAP_HANDLER: 0
; COMPUTE_PGM_RSRC2:TGID_X_EN: 1
; COMPUTE_PGM_RSRC2:TGID_Y_EN: 0
; COMPUTE_PGM_RSRC2:TGID_Z_EN: 0
; COMPUTE_PGM_RSRC2:TIDIG_COMP_CNT: 0
	.text
	.p2alignl 7, 3214868480
	.fill 96, 4, 3214868480
	.section	.AMDGPU.gpr_maximums,"",@progbits
	.set amdgpu.max_num_vgpr, 0
	.set amdgpu.max_num_agpr, 0
	.set amdgpu.max_num_sgpr, 0
	.text
	.type	__hip_cuid_9bd33fcbf1dd6a56,@object ; @__hip_cuid_9bd33fcbf1dd6a56
	.section	.bss,"aw",@nobits
	.globl	__hip_cuid_9bd33fcbf1dd6a56
__hip_cuid_9bd33fcbf1dd6a56:
	.byte	0                               ; 0x0
	.size	__hip_cuid_9bd33fcbf1dd6a56, 1

	.ident	"AMD clang version 22.0.0git (https://github.com/RadeonOpenCompute/llvm-project roc-7.2.4 26084 f58b06dce1f9c15707c5f808fd002e18c2accf7e)"
	.section	".note.GNU-stack","",@progbits
	.addrsig
	.addrsig_sym __hip_cuid_9bd33fcbf1dd6a56
	.amdgpu_metadata
---
amdhsa.kernels:
  - .args:
      - .actual_access:  read_only
        .address_space:  global
        .offset:         0
        .size:           8
        .value_kind:     global_buffer
      - .actual_access:  write_only
        .address_space:  global
        .offset:         8
        .size:           8
        .value_kind:     global_buffer
      - .offset:         16
        .size:           4
        .value_kind:     by_value
      - .offset:         24
        .size:           4
        .value_kind:     hidden_block_count_x
      - .offset:         28
        .size:           4
        .value_kind:     hidden_block_count_y
      - .offset:         32
        .size:           4
        .value_kind:     hidden_block_count_z
      - .offset:         36
        .size:           2
        .value_kind:     hidden_group_size_x
      - .offset:         38
        .size:           2
        .value_kind:     hidden_group_size_y
      - .offset:         40
        .size:           2
        .value_kind:     hidden_group_size_z
      - .offset:         42
        .size:           2
        .value_kind:     hidden_remainder_x
      - .offset:         44
        .size:           2
        .value_kind:     hidden_remainder_y
      - .offset:         46
        .size:           2
        .value_kind:     hidden_remainder_z
      - .offset:         64
        .size:           8
        .value_kind:     hidden_global_offset_x
      - .offset:         72
        .size:           8
        .value_kind:     hidden_global_offset_y
      - .offset:         80
        .size:           8
        .value_kind:     hidden_global_offset_z
      - .offset:         88
        .size:           2
        .value_kind:     hidden_grid_dims
    .group_segment_fixed_size: 0
    .kernarg_segment_align: 8
    .kernarg_segment_size: 280
    .language:       OpenCL C
    .language_version:
      - 2
      - 0
    .max_flat_workgroup_size: 1024
    .name:           _Z8svd3_SOAPKfPfi
    .private_segment_fixed_size: 0
    .sgpr_count:     12
    .sgpr_spill_count: 0
    .symbol:         _Z8svd3_SOAPKfPfi.kd
    .uniform_work_group_size: 1
    .uses_dynamic_stack: false
    .vgpr_count:     70
    .vgpr_spill_count: 0
    .wavefront_size: 32
amdhsa.target:   amdgcn-amd-amdhsa--gfx1250
amdhsa.version:
  - 1
  - 2
...

	.end_amdgpu_metadata
